;; amdgpu-corpus repo=ROCm/rocFFT kind=compiled arch=gfx1201 opt=O3
	.text
	.amdgcn_target "amdgcn-amd-amdhsa--gfx1201"
	.amdhsa_code_object_version 6
	.protected	fft_rtc_fwd_len336_factors_8_7_6_wgs_112_tpt_56_halfLds_half_op_CI_CI_unitstride_sbrr_dirReg ; -- Begin function fft_rtc_fwd_len336_factors_8_7_6_wgs_112_tpt_56_halfLds_half_op_CI_CI_unitstride_sbrr_dirReg
	.globl	fft_rtc_fwd_len336_factors_8_7_6_wgs_112_tpt_56_halfLds_half_op_CI_CI_unitstride_sbrr_dirReg
	.p2align	8
	.type	fft_rtc_fwd_len336_factors_8_7_6_wgs_112_tpt_56_halfLds_half_op_CI_CI_unitstride_sbrr_dirReg,@function
fft_rtc_fwd_len336_factors_8_7_6_wgs_112_tpt_56_halfLds_half_op_CI_CI_unitstride_sbrr_dirReg: ; @fft_rtc_fwd_len336_factors_8_7_6_wgs_112_tpt_56_halfLds_half_op_CI_CI_unitstride_sbrr_dirReg
; %bb.0:
	s_clause 0x2
	s_load_b128 s[8:11], s[0:1], 0x0
	s_load_b128 s[4:7], s[0:1], 0x58
	;; [unrolled: 1-line block ×3, first 2 shown]
	v_mul_u32_u24_e32 v1, 0x493, v0
	v_mov_b32_e32 v5, 0
	v_mov_b32_e32 v7, 0
	;; [unrolled: 1-line block ×3, first 2 shown]
	s_delay_alu instid0(VALU_DEP_4) | instskip(NEXT) | instid1(VALU_DEP_4)
	v_lshrrev_b32_e32 v11, 16, v1
	v_mov_b32_e32 v10, v5
	s_delay_alu instid0(VALU_DEP_2) | instskip(SKIP_2) | instid1(VALU_DEP_1)
	v_lshl_add_u32 v9, ttmp9, 1, v11
	s_wait_kmcnt 0x0
	v_cmp_lt_u64_e64 s2, s[10:11], 2
	s_and_b32 vcc_lo, exec_lo, s2
	s_cbranch_vccnz .LBB0_8
; %bb.1:
	s_load_b64 s[2:3], s[0:1], 0x10
	v_mov_b32_e32 v7, 0
	v_mov_b32_e32 v8, 0
	s_delay_alu instid0(VALU_DEP_2)
	v_mov_b32_e32 v1, v7
	s_add_nc_u64 s[16:17], s[14:15], 8
	s_add_nc_u64 s[18:19], s[12:13], 8
	s_mov_b64 s[20:21], 1
	v_mov_b32_e32 v2, v8
	s_wait_kmcnt 0x0
	s_add_nc_u64 s[22:23], s[2:3], 8
	s_mov_b32 s3, 0
.LBB0_2:                                ; =>This Inner Loop Header: Depth=1
	s_load_b64 s[24:25], s[22:23], 0x0
                                        ; implicit-def: $vgpr3_vgpr4
	s_mov_b32 s2, exec_lo
	s_wait_kmcnt 0x0
	v_or_b32_e32 v6, s25, v10
	s_delay_alu instid0(VALU_DEP_1)
	v_cmpx_ne_u64_e32 0, v[5:6]
	s_wait_alu 0xfffe
	s_xor_b32 s26, exec_lo, s2
	s_cbranch_execz .LBB0_4
; %bb.3:                                ;   in Loop: Header=BB0_2 Depth=1
	s_cvt_f32_u32 s2, s24
	s_cvt_f32_u32 s27, s25
	s_sub_nc_u64 s[30:31], 0, s[24:25]
	s_wait_alu 0xfffe
	s_delay_alu instid0(SALU_CYCLE_1) | instskip(SKIP_1) | instid1(SALU_CYCLE_2)
	s_fmamk_f32 s2, s27, 0x4f800000, s2
	s_wait_alu 0xfffe
	v_s_rcp_f32 s2, s2
	s_delay_alu instid0(TRANS32_DEP_1) | instskip(SKIP_1) | instid1(SALU_CYCLE_2)
	s_mul_f32 s2, s2, 0x5f7ffffc
	s_wait_alu 0xfffe
	s_mul_f32 s27, s2, 0x2f800000
	s_wait_alu 0xfffe
	s_delay_alu instid0(SALU_CYCLE_2) | instskip(SKIP_1) | instid1(SALU_CYCLE_2)
	s_trunc_f32 s27, s27
	s_wait_alu 0xfffe
	s_fmamk_f32 s2, s27, 0xcf800000, s2
	s_cvt_u32_f32 s29, s27
	s_wait_alu 0xfffe
	s_delay_alu instid0(SALU_CYCLE_1) | instskip(SKIP_1) | instid1(SALU_CYCLE_2)
	s_cvt_u32_f32 s28, s2
	s_wait_alu 0xfffe
	s_mul_u64 s[34:35], s[30:31], s[28:29]
	s_wait_alu 0xfffe
	s_mul_hi_u32 s37, s28, s35
	s_mul_i32 s36, s28, s35
	s_mul_hi_u32 s2, s28, s34
	s_mul_i32 s33, s29, s34
	s_wait_alu 0xfffe
	s_add_nc_u64 s[36:37], s[2:3], s[36:37]
	s_mul_hi_u32 s27, s29, s34
	s_mul_hi_u32 s38, s29, s35
	s_add_co_u32 s2, s36, s33
	s_wait_alu 0xfffe
	s_add_co_ci_u32 s2, s37, s27
	s_mul_i32 s34, s29, s35
	s_add_co_ci_u32 s35, s38, 0
	s_wait_alu 0xfffe
	s_add_nc_u64 s[34:35], s[2:3], s[34:35]
	s_wait_alu 0xfffe
	v_add_co_u32 v3, s2, s28, s34
	s_delay_alu instid0(VALU_DEP_1) | instskip(SKIP_1) | instid1(VALU_DEP_1)
	s_cmp_lg_u32 s2, 0
	s_add_co_ci_u32 s29, s29, s35
	v_readfirstlane_b32 s28, v3
	s_wait_alu 0xfffe
	s_delay_alu instid0(VALU_DEP_1)
	s_mul_u64 s[30:31], s[30:31], s[28:29]
	s_wait_alu 0xfffe
	s_mul_hi_u32 s35, s28, s31
	s_mul_i32 s34, s28, s31
	s_mul_hi_u32 s2, s28, s30
	s_mul_i32 s33, s29, s30
	s_wait_alu 0xfffe
	s_add_nc_u64 s[34:35], s[2:3], s[34:35]
	s_mul_hi_u32 s27, s29, s30
	s_mul_hi_u32 s28, s29, s31
	s_wait_alu 0xfffe
	s_add_co_u32 s2, s34, s33
	s_add_co_ci_u32 s2, s35, s27
	s_mul_i32 s30, s29, s31
	s_add_co_ci_u32 s31, s28, 0
	s_wait_alu 0xfffe
	s_add_nc_u64 s[30:31], s[2:3], s[30:31]
	s_wait_alu 0xfffe
	v_add_co_u32 v6, s2, v3, s30
	s_delay_alu instid0(VALU_DEP_1) | instskip(SKIP_1) | instid1(VALU_DEP_1)
	s_cmp_lg_u32 s2, 0
	s_add_co_ci_u32 s2, s29, s31
	v_mul_hi_u32 v16, v9, v6
	s_wait_alu 0xfffe
	v_mad_co_u64_u32 v[3:4], null, v9, s2, 0
	v_mad_co_u64_u32 v[12:13], null, v10, v6, 0
	;; [unrolled: 1-line block ×3, first 2 shown]
	s_delay_alu instid0(VALU_DEP_3) | instskip(SKIP_1) | instid1(VALU_DEP_4)
	v_add_co_u32 v3, vcc_lo, v16, v3
	s_wait_alu 0xfffd
	v_add_co_ci_u32_e32 v4, vcc_lo, 0, v4, vcc_lo
	s_delay_alu instid0(VALU_DEP_2) | instskip(SKIP_1) | instid1(VALU_DEP_2)
	v_add_co_u32 v3, vcc_lo, v3, v12
	s_wait_alu 0xfffd
	v_add_co_ci_u32_e32 v3, vcc_lo, v4, v13, vcc_lo
	s_wait_alu 0xfffd
	v_add_co_ci_u32_e32 v4, vcc_lo, 0, v15, vcc_lo
	s_delay_alu instid0(VALU_DEP_2) | instskip(SKIP_1) | instid1(VALU_DEP_2)
	v_add_co_u32 v6, vcc_lo, v3, v14
	s_wait_alu 0xfffd
	v_add_co_ci_u32_e32 v12, vcc_lo, 0, v4, vcc_lo
	s_delay_alu instid0(VALU_DEP_2) | instskip(SKIP_1) | instid1(VALU_DEP_3)
	v_mul_lo_u32 v13, s25, v6
	v_mad_co_u64_u32 v[3:4], null, s24, v6, 0
	v_mul_lo_u32 v14, s24, v12
	s_delay_alu instid0(VALU_DEP_2) | instskip(NEXT) | instid1(VALU_DEP_2)
	v_sub_co_u32 v3, vcc_lo, v9, v3
	v_add3_u32 v4, v4, v14, v13
	s_delay_alu instid0(VALU_DEP_1) | instskip(SKIP_1) | instid1(VALU_DEP_1)
	v_sub_nc_u32_e32 v13, v10, v4
	s_wait_alu 0xfffd
	v_subrev_co_ci_u32_e64 v13, s2, s25, v13, vcc_lo
	v_add_co_u32 v14, s2, v6, 2
	s_wait_alu 0xf1ff
	v_add_co_ci_u32_e64 v15, s2, 0, v12, s2
	v_sub_co_u32 v16, s2, v3, s24
	v_sub_co_ci_u32_e32 v4, vcc_lo, v10, v4, vcc_lo
	s_wait_alu 0xf1ff
	v_subrev_co_ci_u32_e64 v13, s2, 0, v13, s2
	s_delay_alu instid0(VALU_DEP_3) | instskip(NEXT) | instid1(VALU_DEP_3)
	v_cmp_le_u32_e32 vcc_lo, s24, v16
	v_cmp_eq_u32_e64 s2, s25, v4
	s_wait_alu 0xfffd
	v_cndmask_b32_e64 v16, 0, -1, vcc_lo
	v_cmp_le_u32_e32 vcc_lo, s25, v13
	s_wait_alu 0xfffd
	v_cndmask_b32_e64 v17, 0, -1, vcc_lo
	v_cmp_le_u32_e32 vcc_lo, s24, v3
	;; [unrolled: 3-line block ×3, first 2 shown]
	s_wait_alu 0xfffd
	v_cndmask_b32_e64 v18, 0, -1, vcc_lo
	v_cmp_eq_u32_e32 vcc_lo, s25, v13
	s_wait_alu 0xf1ff
	s_delay_alu instid0(VALU_DEP_2)
	v_cndmask_b32_e64 v3, v18, v3, s2
	s_wait_alu 0xfffd
	v_cndmask_b32_e32 v13, v17, v16, vcc_lo
	v_add_co_u32 v16, vcc_lo, v6, 1
	s_wait_alu 0xfffd
	v_add_co_ci_u32_e32 v17, vcc_lo, 0, v12, vcc_lo
	s_delay_alu instid0(VALU_DEP_3) | instskip(SKIP_1) | instid1(VALU_DEP_2)
	v_cmp_ne_u32_e32 vcc_lo, 0, v13
	s_wait_alu 0xfffd
	v_dual_cndmask_b32 v4, v17, v15 :: v_dual_cndmask_b32 v13, v16, v14
	v_cmp_ne_u32_e32 vcc_lo, 0, v3
	s_wait_alu 0xfffd
	s_delay_alu instid0(VALU_DEP_2)
	v_dual_cndmask_b32 v4, v12, v4 :: v_dual_cndmask_b32 v3, v6, v13
.LBB0_4:                                ;   in Loop: Header=BB0_2 Depth=1
	s_wait_alu 0xfffe
	s_and_not1_saveexec_b32 s2, s26
	s_cbranch_execz .LBB0_6
; %bb.5:                                ;   in Loop: Header=BB0_2 Depth=1
	v_cvt_f32_u32_e32 v3, s24
	s_sub_co_i32 s26, 0, s24
	s_delay_alu instid0(VALU_DEP_1) | instskip(NEXT) | instid1(TRANS32_DEP_1)
	v_rcp_iflag_f32_e32 v3, v3
	v_mul_f32_e32 v3, 0x4f7ffffe, v3
	s_delay_alu instid0(VALU_DEP_1) | instskip(SKIP_1) | instid1(VALU_DEP_1)
	v_cvt_u32_f32_e32 v3, v3
	s_wait_alu 0xfffe
	v_mul_lo_u32 v4, s26, v3
	s_delay_alu instid0(VALU_DEP_1) | instskip(NEXT) | instid1(VALU_DEP_1)
	v_mul_hi_u32 v4, v3, v4
	v_add_nc_u32_e32 v3, v3, v4
	s_delay_alu instid0(VALU_DEP_1) | instskip(NEXT) | instid1(VALU_DEP_1)
	v_mul_hi_u32 v3, v9, v3
	v_mul_lo_u32 v4, v3, s24
	v_add_nc_u32_e32 v6, 1, v3
	s_delay_alu instid0(VALU_DEP_2) | instskip(NEXT) | instid1(VALU_DEP_1)
	v_sub_nc_u32_e32 v4, v9, v4
	v_subrev_nc_u32_e32 v12, s24, v4
	v_cmp_le_u32_e32 vcc_lo, s24, v4
	s_wait_alu 0xfffd
	s_delay_alu instid0(VALU_DEP_2) | instskip(NEXT) | instid1(VALU_DEP_1)
	v_dual_cndmask_b32 v4, v4, v12 :: v_dual_cndmask_b32 v3, v3, v6
	v_cmp_le_u32_e32 vcc_lo, s24, v4
	v_mov_b32_e32 v4, v5
	s_delay_alu instid0(VALU_DEP_3) | instskip(SKIP_1) | instid1(VALU_DEP_1)
	v_add_nc_u32_e32 v6, 1, v3
	s_wait_alu 0xfffd
	v_cndmask_b32_e32 v3, v3, v6, vcc_lo
.LBB0_6:                                ;   in Loop: Header=BB0_2 Depth=1
	s_wait_alu 0xfffe
	s_or_b32 exec_lo, exec_lo, s2
	v_mul_lo_u32 v6, v4, s24
	s_delay_alu instid0(VALU_DEP_2)
	v_mul_lo_u32 v14, v3, s25
	s_load_b64 s[26:27], s[18:19], 0x0
	v_mad_co_u64_u32 v[12:13], null, v3, s24, 0
	s_load_b64 s[24:25], s[16:17], 0x0
	s_add_nc_u64 s[20:21], s[20:21], 1
	s_add_nc_u64 s[16:17], s[16:17], 8
	s_wait_alu 0xfffe
	v_cmp_ge_u64_e64 s2, s[20:21], s[10:11]
	s_add_nc_u64 s[18:19], s[18:19], 8
	s_add_nc_u64 s[22:23], s[22:23], 8
	v_add3_u32 v6, v13, v14, v6
	v_sub_co_u32 v9, vcc_lo, v9, v12
	s_wait_alu 0xfffd
	s_delay_alu instid0(VALU_DEP_2) | instskip(SKIP_2) | instid1(VALU_DEP_1)
	v_sub_co_ci_u32_e32 v6, vcc_lo, v10, v6, vcc_lo
	s_and_b32 vcc_lo, exec_lo, s2
	s_wait_kmcnt 0x0
	v_mul_lo_u32 v10, s26, v6
	v_mul_lo_u32 v12, s27, v9
	v_mad_co_u64_u32 v[7:8], null, s26, v9, v[7:8]
	v_mul_lo_u32 v6, s24, v6
	v_mul_lo_u32 v13, s25, v9
	v_mad_co_u64_u32 v[1:2], null, s24, v9, v[1:2]
	s_delay_alu instid0(VALU_DEP_4) | instskip(NEXT) | instid1(VALU_DEP_2)
	v_add3_u32 v8, v12, v8, v10
	v_add3_u32 v2, v13, v2, v6
	s_wait_alu 0xfffe
	s_cbranch_vccnz .LBB0_9
; %bb.7:                                ;   in Loop: Header=BB0_2 Depth=1
	v_dual_mov_b32 v10, v4 :: v_dual_mov_b32 v9, v3
	s_branch .LBB0_2
.LBB0_8:
	v_dual_mov_b32 v1, v7 :: v_dual_mov_b32 v2, v8
	v_dual_mov_b32 v3, v9 :: v_dual_mov_b32 v4, v10
.LBB0_9:
	s_load_b64 s[0:1], s[0:1], 0x28
	s_lshl_b64 s[10:11], s[10:11], 3
	v_mul_hi_u32 v5, 0x4924925, v0
	s_wait_alu 0xfffe
	s_add_nc_u64 s[2:3], s[14:15], s[10:11]
	v_dual_mov_b32 v9, 0 :: v_dual_mov_b32 v6, 0
	s_load_b64 s[2:3], s[2:3], 0x0
	v_dual_mov_b32 v14, 0 :: v_dual_mov_b32 v17, 0
	v_dual_mov_b32 v12, 0 :: v_dual_mov_b32 v15, 0
	s_delay_alu instid0(VALU_DEP_4) | instskip(SKIP_2) | instid1(VALU_DEP_3)
	v_mul_u32_u24_e32 v5, 56, v5
	v_mov_b32_e32 v10, 0
	v_mov_b32_e32 v16, 0
                                        ; implicit-def: $vgpr13
                                        ; implicit-def: $vgpr18
                                        ; implicit-def: $vgpr22
                                        ; implicit-def: $vgpr20
                                        ; implicit-def: $vgpr24
                                        ; implicit-def: $vgpr19
                                        ; implicit-def: $vgpr23
                                        ; implicit-def: $vgpr21
	v_sub_nc_u32_e32 v5, v0, v5
	v_mov_b32_e32 v0, 0
	s_wait_kmcnt 0x0
	v_cmp_gt_u64_e32 vcc_lo, s[0:1], v[3:4]
	s_and_saveexec_b32 s1, vcc_lo
	s_cbranch_execz .LBB0_13
; %bb.10:
	v_dual_mov_b32 v0, 0 :: v_dual_mov_b32 v15, 0
	v_dual_mov_b32 v16, 0 :: v_dual_mov_b32 v17, 0
	;; [unrolled: 1-line block ×3, first 2 shown]
	v_mov_b32_e32 v12, 0
	v_mov_b32_e32 v14, 0
	s_mov_b32 s14, exec_lo
                                        ; implicit-def: $vgpr21
                                        ; implicit-def: $vgpr23
                                        ; implicit-def: $vgpr19
                                        ; implicit-def: $vgpr24
                                        ; implicit-def: $vgpr20
                                        ; implicit-def: $vgpr22
                                        ; implicit-def: $vgpr18
                                        ; implicit-def: $vgpr13
	v_cmpx_gt_u32_e32 42, v5
	s_cbranch_execz .LBB0_12
; %bb.11:
	s_add_nc_u64 s[10:11], s[12:13], s[10:11]
	v_lshlrev_b64_e32 v[7:8], 2, v[7:8]
	s_load_b64 s[10:11], s[10:11], 0x0
	s_wait_kmcnt 0x0
	v_mul_lo_u32 v0, s11, v3
	v_mul_lo_u32 v6, s10, v4
	v_mad_co_u64_u32 v[9:10], null, s10, v3, 0
	s_delay_alu instid0(VALU_DEP_1) | instskip(SKIP_1) | instid1(VALU_DEP_2)
	v_add3_u32 v10, v10, v6, v0
	v_mov_b32_e32 v6, 0
	v_lshlrev_b64_e32 v[9:10], 2, v[9:10]
	s_delay_alu instid0(VALU_DEP_1) | instskip(SKIP_1) | instid1(VALU_DEP_2)
	v_add_co_u32 v0, s0, s4, v9
	s_wait_alu 0xf1ff
	v_add_co_ci_u32_e64 v12, s0, s5, v10, s0
	v_lshlrev_b64_e32 v[9:10], 2, v[5:6]
	s_delay_alu instid0(VALU_DEP_3) | instskip(SKIP_1) | instid1(VALU_DEP_3)
	v_add_co_u32 v0, s0, v0, v7
	s_wait_alu 0xf1ff
	v_add_co_ci_u32_e64 v7, s0, v12, v8, s0
	s_delay_alu instid0(VALU_DEP_2) | instskip(SKIP_1) | instid1(VALU_DEP_2)
	v_add_co_u32 v6, s0, v0, v9
	s_wait_alu 0xf1ff
	v_add_co_ci_u32_e64 v7, s0, v7, v10, s0
	s_clause 0x7
	global_load_b32 v14, v[6:7], off
	global_load_b32 v12, v[6:7], off offset:168
	global_load_b32 v15, v[6:7], off offset:336
	;; [unrolled: 1-line block ×7, first 2 shown]
	s_wait_loadcnt 0x7
	v_lshrrev_b32_e32 v9, 16, v14
	s_wait_loadcnt 0x6
	v_lshrrev_b32_e32 v17, 16, v12
	;; [unrolled: 2-line block ×8, first 2 shown]
.LBB0_12:
	s_or_b32 exec_lo, exec_lo, s14
	v_mov_b32_e32 v6, v5
.LBB0_13:
	s_wait_alu 0xfffe
	s_or_b32 exec_lo, exec_lo, s1
	v_sub_f16_e32 v8, v14, v18
	v_sub_f16_e32 v18, v15, v19
	;; [unrolled: 1-line block ×7, first 2 shown]
	v_fma_f16 v14, v14, 2.0, -v8
	v_fma_f16 v12, v12, 2.0, -v24
	;; [unrolled: 1-line block ×4, first 2 shown]
	v_sub_f16_e32 v28, v8, v19
	v_fma_f16 v21, v17, 2.0, -v22
	v_sub_f16_e32 v7, v24, v23
	v_sub_f16_e32 v20, v12, v0
	v_fma_f16 v0, v16, 2.0, -v23
	v_sub_f16_e32 v17, v14, v15
	v_fma_f16 v15, v8, 2.0, -v28
	v_add_f16_e32 v26, v22, v25
	v_fma_f16 v24, v24, 2.0, -v7
	v_sub_f16_e32 v23, v21, v0
	v_and_b32_e32 v0, 1, v11
	v_fma_f16 v8, v14, 2.0, -v17
	v_fma_f16 v14, v12, 2.0, -v20
	;; [unrolled: 1-line block ×3, first 2 shown]
	v_fmamk_f16 v12, v24, 0xb9a8, v15
	v_fmamk_f16 v27, v7, 0x39a8, v28
	v_cmp_eq_u32_e64 s0, 1, v0
	v_sub_f16_e32 v11, v8, v14
	v_sub_f16_e32 v14, v17, v23
	v_fmac_f16_e32 v12, 0xb9a8, v25
	v_fmac_f16_e32 v27, 0xb9a8, v26
	s_wait_alu 0xf1ff
	v_cndmask_b32_e64 v0, 0, 0x150, s0
	v_fma_f16 v8, v8, 2.0, -v11
	v_fma_f16 v16, v17, 2.0, -v14
	;; [unrolled: 1-line block ×4, first 2 shown]
	v_cmp_gt_u32_e64 s1, 42, v5
	v_lshlrev_b32_e32 v22, 4, v5
	v_lshlrev_b32_e32 v0, 1, v0
	s_delay_alu instid0(VALU_DEP_3)
	s_and_saveexec_b32 s0, s1
	s_cbranch_execz .LBB0_15
; %bb.14:
	s_delay_alu instid0(VALU_DEP_1)
	v_add3_u32 v28, 0, v22, v0
	v_perm_b32 v29, v17, v16, 0x5040100
	v_perm_b32 v30, v15, v8, 0x5040100
	;; [unrolled: 1-line block ×4, first 2 shown]
	ds_store_2addr_b32 v28, v30, v29 offset1:1
	ds_store_2addr_b32 v28, v31, v27 offset0:2 offset1:3
.LBB0_15:
	s_wait_alu 0xfffe
	s_or_b32 exec_lo, exec_lo, s0
	v_mul_f16_e32 v24, 0x39a8, v24
	v_mul_f16_e32 v27, 0x39a8, v25
	;; [unrolled: 1-line block ×4, first 2 shown]
	v_cmp_gt_u32_e64 s0, 48, v5
	v_lshlrev_b32_e32 v7, 1, v5
	global_wb scope:SCOPE_SE
	s_wait_dscnt 0x0
	s_barrier_signal -1
	s_barrier_wait -1
	global_inv scope:SCOPE_SE
	s_and_saveexec_b32 s4, s0
	s_cbranch_execz .LBB0_17
; %bb.16:
	v_add3_u32 v8, 0, v0, v7
	v_add3_u32 v14, 0, v7, v0
	ds_load_u16 v8, v8
	ds_load_u16 v15, v14 offset:96
	ds_load_u16 v16, v14 offset:192
	;; [unrolled: 1-line block ×6, first 2 shown]
.LBB0_17:
	s_wait_alu 0xfffe
	s_or_b32 exec_lo, exec_lo, s4
	v_sub_f16_e32 v13, v9, v13
	v_fma_f16 v10, v10, 2.0, -v19
	global_wb scope:SCOPE_SE
	s_wait_dscnt 0x0
	s_barrier_signal -1
	s_barrier_wait -1
	v_fma_f16 v9, v9, 2.0, -v13
	v_add_f16_e32 v18, v13, v18
	global_inv scope:SCOPE_SE
	v_sub_f16_e32 v19, v9, v10
	v_fma_f16 v30, v13, 2.0, -v18
	v_fma_f16 v13, v21, 2.0, -v23
	v_add_f16_e32 v23, v18, v26
	s_delay_alu instid0(VALU_DEP_4) | instskip(NEXT) | instid1(VALU_DEP_4)
	v_fma_f16 v9, v9, 2.0, -v19
	v_sub_f16_e32 v21, v30, v27
	v_add_f16_e32 v10, v19, v20
	s_delay_alu instid0(VALU_DEP_3) | instskip(NEXT) | instid1(VALU_DEP_3)
	v_sub_f16_e32 v28, v9, v13
	v_add_f16_e32 v29, v24, v21
	v_add_f16_e32 v13, v25, v23
	s_delay_alu instid0(VALU_DEP_4) | instskip(NEXT) | instid1(VALU_DEP_4)
	v_fma_f16 v25, v19, 2.0, -v10
	v_fma_f16 v9, v9, 2.0, -v28
	s_delay_alu instid0(VALU_DEP_4) | instskip(NEXT) | instid1(VALU_DEP_4)
	v_fma_f16 v23, v30, 2.0, -v29
	v_fma_f16 v26, v18, 2.0, -v13
	s_and_saveexec_b32 s4, s1
	s_cbranch_execz .LBB0_19
; %bb.18:
	v_add3_u32 v18, 0, v22, v0
	s_delay_alu instid0(VALU_DEP_2)
	v_perm_b32 v19, v26, v25, 0x5040100
	v_perm_b32 v20, v23, v9, 0x5040100
	;; [unrolled: 1-line block ×4, first 2 shown]
	ds_store_2addr_b32 v18, v20, v19 offset1:1
	ds_store_2addr_b32 v18, v21, v13 offset0:2 offset1:3
.LBB0_19:
	s_wait_alu 0xfffe
	s_or_b32 exec_lo, exec_lo, s4
	global_wb scope:SCOPE_SE
	s_wait_dscnt 0x0
	s_barrier_signal -1
	s_barrier_wait -1
	global_inv scope:SCOPE_SE
	s_and_saveexec_b32 s1, s0
	s_cbranch_execz .LBB0_21
; %bb.20:
	v_add3_u32 v9, 0, v0, v7
	v_add3_u32 v10, 0, v7, v0
	ds_load_u16 v9, v9
	ds_load_u16 v23, v10 offset:96
	ds_load_u16 v25, v10 offset:192
	;; [unrolled: 1-line block ×6, first 2 shown]
.LBB0_21:
	s_wait_alu 0xfffe
	s_or_b32 exec_lo, exec_lo, s1
	v_and_b32_e32 v13, 7, v5
	s_delay_alu instid0(VALU_DEP_1) | instskip(NEXT) | instid1(VALU_DEP_1)
	v_mul_u32_u24_e32 v18, 6, v13
	v_lshlrev_b32_e32 v18, 2, v18
	s_clause 0x1
	global_load_b128 v[30:33], v18, s[8:9]
	global_load_b64 v[34:35], v18, s[8:9] offset:16
	global_wb scope:SCOPE_SE
	s_wait_loadcnt_dscnt 0x0
	s_barrier_signal -1
	s_barrier_wait -1
	global_inv scope:SCOPE_SE
	v_lshrrev_b32_e32 v18, 16, v30
	v_lshrrev_b32_e32 v20, 16, v31
	;; [unrolled: 1-line block ×6, first 2 shown]
	v_mul_f16_e32 v36, v23, v18
	v_mul_f16_e32 v19, v15, v18
	;; [unrolled: 1-line block ×12, first 2 shown]
	v_fma_f16 v24, v15, v30, -v36
	v_fmac_f16_e32 v19, v23, v30
	v_fma_f16 v23, v16, v31, -v37
	v_fmac_f16_e32 v20, v25, v31
	;; [unrolled: 2-line block ×6, first 2 shown]
	v_lshrrev_b32_e32 v17, 3, v5
	s_and_saveexec_b32 s1, s0
	s_cbranch_execz .LBB0_23
; %bb.22:
	v_add_f16_e32 v10, v24, v29
	v_add_f16_e32 v11, v23, v28
	;; [unrolled: 1-line block ×3, first 2 shown]
	v_sub_f16_e32 v14, v19, v27
	v_sub_f16_e32 v15, v21, v18
	;; [unrolled: 1-line block ×3, first 2 shown]
	v_add_f16_e32 v16, v11, v10
	v_sub_f16_e32 v31, v10, v12
	v_sub_f16_e32 v32, v12, v11
	;; [unrolled: 1-line block ×3, first 2 shown]
	v_mul_u32_u24_e32 v35, 56, v17
	v_add_f16_e32 v12, v12, v16
	v_sub_f16_e32 v16, v15, v30
	v_add_f16_e32 v15, v15, v30
	v_sub_f16_e32 v30, v30, v14
	v_sub_f16_e32 v10, v11, v10
	v_mul_f16_e32 v11, 0x3a52, v31
	v_mul_f16_e32 v16, 0xb846, v16
	v_add_f16_e32 v14, v15, v14
	v_mul_f16_e32 v15, 0x3b00, v30
	v_add_f16_e32 v8, v8, v12
	v_mul_f16_e32 v31, 0x2b26, v32
	v_fmamk_f16 v34, v33, 0x3574, v16
	v_fmamk_f16 v32, v32, 0x2b26, v11
	v_fma_f16 v15, v33, 0xb574, -v15
	v_or_b32_e32 v33, v35, v13
	v_fmamk_f16 v12, v12, 0xbcab, v8
	v_fma_f16 v11, v10, 0xb9e0, -v11
	v_fma_f16 v16, v30, 0x3b00, -v16
	;; [unrolled: 1-line block ×3, first 2 shown]
	v_lshlrev_b32_e32 v30, 1, v33
	v_add_f16_e32 v32, v32, v12
	v_fmac_f16_e32 v34, 0x370e, v14
	v_add_f16_e32 v11, v11, v12
	v_fmac_f16_e32 v15, 0x370e, v14
	v_fmac_f16_e32 v16, 0x370e, v14
	v_add_f16_e32 v10, v10, v12
	v_add3_u32 v14, 0, v30, v0
	v_add_f16_e32 v30, v34, v32
	v_sub_f16_e32 v12, v11, v15
	v_add_f16_e32 v11, v15, v11
	v_sub_f16_e32 v15, v10, v16
	;; [unrolled: 2-line block ×3, first 2 shown]
	ds_store_b16 v14, v8
	ds_store_b16 v14, v30 offset:16
	ds_store_b16 v14, v11 offset:32
	;; [unrolled: 1-line block ×6, first 2 shown]
.LBB0_23:
	s_wait_alu 0xfffe
	s_or_b32 exec_lo, exec_lo, s1
	v_add3_u32 v16, 0, v0, v7
	v_add3_u32 v7, 0, v7, v0
	global_wb scope:SCOPE_SE
	s_wait_dscnt 0x0
	s_barrier_signal -1
	s_barrier_wait -1
	global_inv scope:SCOPE_SE
	ds_load_u16 v8, v16
	ds_load_u16 v10, v7 offset:112
	ds_load_u16 v14, v7 offset:224
	;; [unrolled: 1-line block ×5, first 2 shown]
	global_wb scope:SCOPE_SE
	s_wait_dscnt 0x0
	s_barrier_signal -1
	s_barrier_wait -1
	global_inv scope:SCOPE_SE
	s_and_saveexec_b32 s1, s0
	s_cbranch_execz .LBB0_25
; %bb.24:
	v_add_f16_e32 v19, v19, v27
	v_add_f16_e32 v20, v20, v22
	v_sub_f16_e32 v22, v24, v29
	v_add_f16_e32 v18, v18, v21
	v_sub_f16_e32 v21, v23, v28
	v_sub_f16_e32 v23, v26, v25
	v_add_f16_e32 v24, v20, v19
	v_sub_f16_e32 v25, v20, v19
	v_sub_f16_e32 v19, v19, v18
	v_sub_f16_e32 v20, v18, v20
	v_add_f16_e32 v26, v23, v21
	v_add_f16_e32 v18, v18, v24
	v_sub_f16_e32 v24, v23, v21
	v_sub_f16_e32 v21, v21, v22
	v_mul_u32_u24_e32 v17, 56, v17
	v_sub_f16_e32 v23, v22, v23
	v_add_f16_e32 v22, v26, v22
	v_add_f16_e32 v9, v9, v18
	v_mul_f16_e32 v19, 0x3a52, v19
	v_mul_f16_e32 v26, 0x2b26, v20
	;; [unrolled: 1-line block ×4, first 2 shown]
	v_or_b32_e32 v13, v17, v13
	v_fmamk_f16 v18, v18, 0xbcab, v9
	v_fmamk_f16 v20, v20, 0x2b26, v19
	v_fma_f16 v26, v25, 0x39e0, -v26
	v_fma_f16 v19, v25, 0xb9e0, -v19
	v_fmamk_f16 v25, v23, 0x3574, v24
	v_fma_f16 v23, v23, 0xb574, -v27
	v_fma_f16 v21, v21, 0x3b00, -v24
	v_lshlrev_b32_e32 v13, 1, v13
	v_add_f16_e32 v20, v20, v18
	v_fmac_f16_e32 v25, 0x370e, v22
	v_add_f16_e32 v17, v26, v18
	v_add_f16_e32 v18, v19, v18
	v_fmac_f16_e32 v23, 0x370e, v22
	v_fmac_f16_e32 v21, 0x370e, v22
	v_add3_u32 v0, 0, v13, v0
	v_sub_f16_e32 v19, v20, v25
	v_add_f16_e32 v20, v25, v20
	v_sub_f16_e32 v22, v18, v23
	v_add_f16_e32 v13, v21, v17
	;; [unrolled: 2-line block ×3, first 2 shown]
	ds_store_b16 v0, v9
	ds_store_b16 v0, v19 offset:16
	ds_store_b16 v0, v22 offset:32
	;; [unrolled: 1-line block ×6, first 2 shown]
.LBB0_25:
	s_wait_alu 0xfffe
	s_or_b32 exec_lo, exec_lo, s1
	global_wb scope:SCOPE_SE
	s_wait_dscnt 0x0
	s_barrier_signal -1
	s_barrier_wait -1
	global_inv scope:SCOPE_SE
	s_and_saveexec_b32 s0, vcc_lo
	s_cbranch_execz .LBB0_27
; %bb.26:
	v_mul_u32_u24_e32 v0, 5, v5
	v_mul_lo_u32 v9, s2, v4
	s_delay_alu instid0(VALU_DEP_2)
	v_lshlrev_b32_e32 v0, 2, v0
	s_clause 0x1
	global_load_b128 v[17:20], v0, s[8:9] offset:192
	global_load_b32 v5, v0, s[8:9] offset:208
	v_mul_lo_u32 v0, s3, v3
	v_mad_co_u64_u32 v[3:4], null, s2, v3, 0
	s_delay_alu instid0(VALU_DEP_1)
	v_add3_u32 v4, v4, v9, v0
	ds_load_u16 v9, v7 offset:560
	ds_load_u16 v13, v7 offset:448
	;; [unrolled: 1-line block ×5, first 2 shown]
	v_mov_b32_e32 v7, 0
	v_lshlrev_b64_e32 v[0:1], 2, v[1:2]
	v_lshlrev_b64_e32 v[3:4], 2, v[3:4]
	s_delay_alu instid0(VALU_DEP_1) | instskip(SKIP_1) | instid1(VALU_DEP_2)
	v_add_co_u32 v24, vcc_lo, s6, v3
	s_wait_alu 0xfffd
	v_add_co_ci_u32_e32 v4, vcc_lo, s7, v4, vcc_lo
	v_lshlrev_b64_e32 v[2:3], 2, v[6:7]
	s_delay_alu instid0(VALU_DEP_3) | instskip(SKIP_1) | instid1(VALU_DEP_3)
	v_add_co_u32 v0, vcc_lo, v24, v0
	s_wait_alu 0xfffd
	v_add_co_ci_u32_e32 v1, vcc_lo, v4, v1, vcc_lo
	ds_load_u16 v4, v16
	v_add_co_u32 v0, vcc_lo, v0, v2
	s_wait_alu 0xfffd
	v_add_co_ci_u32_e32 v1, vcc_lo, v1, v3, vcc_lo
	s_wait_loadcnt 0x1
	v_lshrrev_b32_e32 v2, 16, v18
	v_lshrrev_b32_e32 v3, 16, v20
	;; [unrolled: 1-line block ×3, first 2 shown]
	s_wait_loadcnt 0x0
	v_lshrrev_b32_e32 v16, 16, v5
	v_lshrrev_b32_e32 v6, 16, v17
	s_wait_dscnt 0x2
	v_mul_f16_e32 v24, v22, v2
	v_mul_f16_e32 v25, v13, v3
	;; [unrolled: 1-line block ×8, first 2 shown]
	s_wait_dscnt 0x1
	v_mul_f16_e32 v26, v23, v6
	v_mul_f16_e32 v6, v10, v6
	v_fmac_f16_e32 v2, v18, v22
	v_fmac_f16_e32 v3, v20, v13
	v_fma_f16 v11, v11, v19, -v27
	v_fma_f16 v12, v12, v5, -v28
	v_fmac_f16_e32 v7, v19, v21
	v_fmac_f16_e32 v16, v5, v9
	v_fma_f16 v14, v14, v18, -v24
	v_fma_f16 v15, v15, v20, -v25
	;; [unrolled: 1-line block ×3, first 2 shown]
	v_fmac_f16_e32 v6, v17, v23
	v_add_f16_e32 v9, v2, v3
	v_add_f16_e32 v13, v11, v12
	;; [unrolled: 1-line block ×3, first 2 shown]
	v_sub_f16_e32 v5, v14, v15
	v_sub_f16_e32 v17, v7, v16
	;; [unrolled: 1-line block ×3, first 2 shown]
	s_wait_dscnt 0x0
	v_add_f16_e32 v20, v2, v4
	v_add_f16_e32 v7, v6, v7
	;; [unrolled: 1-line block ×4, first 2 shown]
	v_fma_f16 v4, -0.5, v9, v4
	v_fma_f16 v9, -0.5, v13, v10
	;; [unrolled: 1-line block ×3, first 2 shown]
	v_add_f16_e32 v11, v10, v11
	v_add_f16_e32 v10, v14, v15
	v_sub_f16_e32 v2, v2, v3
	v_fmamk_f16 v13, v17, 0xbaee, v9
	v_fmamk_f16 v14, v18, 0x3aee, v6
	v_fmac_f16_e32 v6, 0xbaee, v18
	v_fmac_f16_e32 v9, 0x3aee, v17
	v_add_f16_e32 v3, v3, v20
	v_add_f16_e32 v7, v7, v16
	v_fma_f16 v8, -0.5, v21, v8
	v_add_f16_e32 v11, v11, v12
	v_mul_f16_e32 v16, 0xbaee, v9
	v_mul_f16_e32 v17, 0x3aee, v6
	v_fmamk_f16 v12, v5, 0x3aee, v4
	v_fmac_f16_e32 v4, 0xbaee, v5
	v_sub_f16_e32 v5, v3, v7
	v_fmamk_f16 v15, v2, 0xbaee, v8
	v_fmac_f16_e32 v8, 0x3aee, v2
	v_sub_f16_e32 v2, v10, v11
	v_add_f16_e32 v3, v3, v7
	v_mul_f16_e32 v7, -0.5, v14
	v_add_f16_e32 v10, v10, v11
	v_mul_f16_e32 v11, -0.5, v13
	v_fmac_f16_e32 v16, 0.5, v6
	v_fmac_f16_e32 v17, 0.5, v9
	v_fmac_f16_e32 v7, 0xbaee, v13
	v_pack_b32_f16 v3, v10, v3
	v_fmac_f16_e32 v11, 0x3aee, v14
	v_sub_f16_e32 v9, v4, v16
	v_add_f16_e32 v4, v4, v16
	v_add_f16_e32 v10, v8, v17
	v_sub_f16_e32 v6, v12, v7
	v_add_f16_e32 v7, v12, v7
	v_add_f16_e32 v12, v15, v11
	v_sub_f16_e32 v8, v8, v17
	v_sub_f16_e32 v11, v15, v11
	v_pack_b32_f16 v4, v10, v4
	v_pack_b32_f16 v2, v2, v5
	;; [unrolled: 1-line block ×5, first 2 shown]
	s_clause 0x5
	global_store_b32 v[0:1], v3, off
	global_store_b32 v[0:1], v4, off offset:224
	global_store_b32 v[0:1], v5, off offset:448
	;; [unrolled: 1-line block ×5, first 2 shown]
.LBB0_27:
	s_nop 0
	s_sendmsg sendmsg(MSG_DEALLOC_VGPRS)
	s_endpgm
	.section	.rodata,"a",@progbits
	.p2align	6, 0x0
	.amdhsa_kernel fft_rtc_fwd_len336_factors_8_7_6_wgs_112_tpt_56_halfLds_half_op_CI_CI_unitstride_sbrr_dirReg
		.amdhsa_group_segment_fixed_size 0
		.amdhsa_private_segment_fixed_size 0
		.amdhsa_kernarg_size 104
		.amdhsa_user_sgpr_count 2
		.amdhsa_user_sgpr_dispatch_ptr 0
		.amdhsa_user_sgpr_queue_ptr 0
		.amdhsa_user_sgpr_kernarg_segment_ptr 1
		.amdhsa_user_sgpr_dispatch_id 0
		.amdhsa_user_sgpr_private_segment_size 0
		.amdhsa_wavefront_size32 1
		.amdhsa_uses_dynamic_stack 0
		.amdhsa_enable_private_segment 0
		.amdhsa_system_sgpr_workgroup_id_x 1
		.amdhsa_system_sgpr_workgroup_id_y 0
		.amdhsa_system_sgpr_workgroup_id_z 0
		.amdhsa_system_sgpr_workgroup_info 0
		.amdhsa_system_vgpr_workitem_id 0
		.amdhsa_next_free_vgpr 42
		.amdhsa_next_free_sgpr 39
		.amdhsa_reserve_vcc 1
		.amdhsa_float_round_mode_32 0
		.amdhsa_float_round_mode_16_64 0
		.amdhsa_float_denorm_mode_32 3
		.amdhsa_float_denorm_mode_16_64 3
		.amdhsa_fp16_overflow 0
		.amdhsa_workgroup_processor_mode 1
		.amdhsa_memory_ordered 1
		.amdhsa_forward_progress 0
		.amdhsa_round_robin_scheduling 0
		.amdhsa_exception_fp_ieee_invalid_op 0
		.amdhsa_exception_fp_denorm_src 0
		.amdhsa_exception_fp_ieee_div_zero 0
		.amdhsa_exception_fp_ieee_overflow 0
		.amdhsa_exception_fp_ieee_underflow 0
		.amdhsa_exception_fp_ieee_inexact 0
		.amdhsa_exception_int_div_zero 0
	.end_amdhsa_kernel
	.text
.Lfunc_end0:
	.size	fft_rtc_fwd_len336_factors_8_7_6_wgs_112_tpt_56_halfLds_half_op_CI_CI_unitstride_sbrr_dirReg, .Lfunc_end0-fft_rtc_fwd_len336_factors_8_7_6_wgs_112_tpt_56_halfLds_half_op_CI_CI_unitstride_sbrr_dirReg
                                        ; -- End function
	.section	.AMDGPU.csdata,"",@progbits
; Kernel info:
; codeLenInByte = 4384
; NumSgprs: 41
; NumVgprs: 42
; ScratchSize: 0
; MemoryBound: 0
; FloatMode: 240
; IeeeMode: 1
; LDSByteSize: 0 bytes/workgroup (compile time only)
; SGPRBlocks: 5
; VGPRBlocks: 5
; NumSGPRsForWavesPerEU: 41
; NumVGPRsForWavesPerEU: 42
; Occupancy: 16
; WaveLimiterHint : 1
; COMPUTE_PGM_RSRC2:SCRATCH_EN: 0
; COMPUTE_PGM_RSRC2:USER_SGPR: 2
; COMPUTE_PGM_RSRC2:TRAP_HANDLER: 0
; COMPUTE_PGM_RSRC2:TGID_X_EN: 1
; COMPUTE_PGM_RSRC2:TGID_Y_EN: 0
; COMPUTE_PGM_RSRC2:TGID_Z_EN: 0
; COMPUTE_PGM_RSRC2:TIDIG_COMP_CNT: 0
	.text
	.p2alignl 7, 3214868480
	.fill 96, 4, 3214868480
	.type	__hip_cuid_e7d1c7fe54fc86d6,@object ; @__hip_cuid_e7d1c7fe54fc86d6
	.section	.bss,"aw",@nobits
	.globl	__hip_cuid_e7d1c7fe54fc86d6
__hip_cuid_e7d1c7fe54fc86d6:
	.byte	0                               ; 0x0
	.size	__hip_cuid_e7d1c7fe54fc86d6, 1

	.ident	"AMD clang version 19.0.0git (https://github.com/RadeonOpenCompute/llvm-project roc-6.4.0 25133 c7fe45cf4b819c5991fe208aaa96edf142730f1d)"
	.section	".note.GNU-stack","",@progbits
	.addrsig
	.addrsig_sym __hip_cuid_e7d1c7fe54fc86d6
	.amdgpu_metadata
---
amdhsa.kernels:
  - .args:
      - .actual_access:  read_only
        .address_space:  global
        .offset:         0
        .size:           8
        .value_kind:     global_buffer
      - .offset:         8
        .size:           8
        .value_kind:     by_value
      - .actual_access:  read_only
        .address_space:  global
        .offset:         16
        .size:           8
        .value_kind:     global_buffer
      - .actual_access:  read_only
        .address_space:  global
        .offset:         24
        .size:           8
        .value_kind:     global_buffer
      - .actual_access:  read_only
        .address_space:  global
        .offset:         32
        .size:           8
        .value_kind:     global_buffer
      - .offset:         40
        .size:           8
        .value_kind:     by_value
      - .actual_access:  read_only
        .address_space:  global
        .offset:         48
        .size:           8
        .value_kind:     global_buffer
      - .actual_access:  read_only
        .address_space:  global
        .offset:         56
        .size:           8
        .value_kind:     global_buffer
      - .offset:         64
        .size:           4
        .value_kind:     by_value
      - .actual_access:  read_only
        .address_space:  global
        .offset:         72
        .size:           8
        .value_kind:     global_buffer
      - .actual_access:  read_only
        .address_space:  global
        .offset:         80
        .size:           8
        .value_kind:     global_buffer
      - .actual_access:  read_only
        .address_space:  global
        .offset:         88
        .size:           8
        .value_kind:     global_buffer
      - .actual_access:  write_only
        .address_space:  global
        .offset:         96
        .size:           8
        .value_kind:     global_buffer
    .group_segment_fixed_size: 0
    .kernarg_segment_align: 8
    .kernarg_segment_size: 104
    .language:       OpenCL C
    .language_version:
      - 2
      - 0
    .max_flat_workgroup_size: 112
    .name:           fft_rtc_fwd_len336_factors_8_7_6_wgs_112_tpt_56_halfLds_half_op_CI_CI_unitstride_sbrr_dirReg
    .private_segment_fixed_size: 0
    .sgpr_count:     41
    .sgpr_spill_count: 0
    .symbol:         fft_rtc_fwd_len336_factors_8_7_6_wgs_112_tpt_56_halfLds_half_op_CI_CI_unitstride_sbrr_dirReg.kd
    .uniform_work_group_size: 1
    .uses_dynamic_stack: false
    .vgpr_count:     42
    .vgpr_spill_count: 0
    .wavefront_size: 32
    .workgroup_processor_mode: 1
amdhsa.target:   amdgcn-amd-amdhsa--gfx1201
amdhsa.version:
  - 1
  - 2
...

	.end_amdgpu_metadata
